;; amdgpu-corpus repo=ROCm/rocFFT kind=compiled arch=gfx1201 opt=O3
	.text
	.amdgcn_target "amdgcn-amd-amdhsa--gfx1201"
	.amdhsa_code_object_version 6
	.protected	bluestein_single_back_len1215_dim1_sp_op_CI_CI ; -- Begin function bluestein_single_back_len1215_dim1_sp_op_CI_CI
	.globl	bluestein_single_back_len1215_dim1_sp_op_CI_CI
	.p2align	8
	.type	bluestein_single_back_len1215_dim1_sp_op_CI_CI,@function
bluestein_single_back_len1215_dim1_sp_op_CI_CI: ; @bluestein_single_back_len1215_dim1_sp_op_CI_CI
; %bb.0:
	s_load_b128 s[12:15], s[0:1], 0x28
	v_mul_u32_u24_e32 v1, 0x10e, v0
	s_mov_b32 s2, exec_lo
	v_mov_b32_e32 v41, 0
	s_delay_alu instid0(VALU_DEP_2) | instskip(NEXT) | instid1(VALU_DEP_1)
	v_lshrrev_b32_e32 v1, 16, v1
	v_add_nc_u32_e32 v40, ttmp9, v1
	s_wait_kmcnt 0x0
	s_delay_alu instid0(VALU_DEP_1)
	v_cmpx_gt_u64_e64 s[12:13], v[40:41]
	s_cbranch_execz .LBB0_42
; %bb.1:
	s_clause 0x1
	s_load_b128 s[4:7], s[0:1], 0x18
	s_load_b128 s[8:11], s[0:1], 0x0
	v_mul_lo_u16 v1, 0xf3, v1
	s_delay_alu instid0(VALU_DEP_1) | instskip(NEXT) | instid1(VALU_DEP_1)
	v_sub_nc_u16 v20, v0, v1
	v_and_b32_e32 v65, 0xffff, v20
	s_delay_alu instid0(VALU_DEP_1)
	v_lshlrev_b32_e32 v66, 3, v65
	s_wait_kmcnt 0x0
	s_load_b128 s[16:19], s[4:5], 0x0
	s_clause 0x2
	global_load_b64 v[41:42], v66, s[8:9]
	global_load_b64 v[43:44], v66, s[8:9] offset:1944
	global_load_b64 v[45:46], v66, s[8:9] offset:3888
	v_add_nc_u32_e32 v14, 0xf00, v66
	s_wait_kmcnt 0x0
	v_mad_co_u64_u32 v[0:1], null, s18, v40, 0
	v_mad_co_u64_u32 v[2:3], null, s16, v65, 0
	s_mul_u64 s[2:3], s[16:17], 0x798
	s_delay_alu instid0(VALU_DEP_1) | instskip(NEXT) | instid1(VALU_DEP_1)
	v_mad_co_u64_u32 v[4:5], null, s19, v40, v[1:2]
	v_mad_co_u64_u32 v[5:6], null, s17, v65, v[3:4]
	v_mov_b32_e32 v1, v4
	s_delay_alu instid0(VALU_DEP_1) | instskip(NEXT) | instid1(VALU_DEP_3)
	v_lshlrev_b64_e32 v[0:1], 3, v[0:1]
	v_mov_b32_e32 v3, v5
	s_delay_alu instid0(VALU_DEP_2) | instskip(NEXT) | instid1(VALU_DEP_2)
	v_add_co_u32 v0, vcc_lo, s14, v0
	v_lshlrev_b64_e32 v[2:3], 3, v[2:3]
	s_delay_alu instid0(VALU_DEP_4) | instskip(NEXT) | instid1(VALU_DEP_2)
	v_add_co_ci_u32_e32 v1, vcc_lo, s15, v1, vcc_lo
	v_add_co_u32 v0, vcc_lo, v0, v2
	s_wait_alu 0xfffd
	s_delay_alu instid0(VALU_DEP_2) | instskip(NEXT) | instid1(VALU_DEP_2)
	v_add_co_ci_u32_e32 v1, vcc_lo, v1, v3, vcc_lo
	v_add_co_u32 v2, vcc_lo, v0, s2
	s_wait_alu 0xfffd
	s_delay_alu instid0(VALU_DEP_2) | instskip(NEXT) | instid1(VALU_DEP_2)
	v_add_co_ci_u32_e32 v3, vcc_lo, s3, v1, vcc_lo
	v_add_co_u32 v4, vcc_lo, v2, s2
	s_wait_alu 0xfffd
	s_delay_alu instid0(VALU_DEP_2)
	v_add_co_ci_u32_e32 v5, vcc_lo, s3, v3, vcc_lo
	s_clause 0x1
	global_load_b64 v[0:1], v[0:1], off
	global_load_b64 v[2:3], v[2:3], off
	v_add_co_u32 v6, vcc_lo, v4, s2
	s_wait_alu 0xfffd
	v_add_co_ci_u32_e32 v7, vcc_lo, s3, v5, vcc_lo
	global_load_b64 v[4:5], v[4:5], off
	v_add_co_u32 v8, vcc_lo, v6, s2
	s_wait_alu 0xfffd
	v_add_co_ci_u32_e32 v9, vcc_lo, s3, v7, vcc_lo
	global_load_b64 v[47:48], v66, s[8:9] offset:5832
	global_load_b64 v[6:7], v[6:7], off
	global_load_b64 v[49:50], v66, s[8:9] offset:7776
	global_load_b64 v[8:9], v[8:9], off
	s_load_b128 s[4:7], s[6:7], 0x0
	s_load_b64 s[2:3], s[0:1], 0x38
	v_cmp_gt_u16_e32 vcc_lo, 0xa2, v20
	s_wait_loadcnt 0x6
	v_mul_f32_e32 v10, v1, v42
	s_wait_loadcnt 0x5
	v_dual_mul_f32 v11, v0, v42 :: v_dual_mul_f32 v12, v3, v44
	s_delay_alu instid0(VALU_DEP_2) | instskip(SKIP_2) | instid1(VALU_DEP_3)
	v_dual_mul_f32 v13, v2, v44 :: v_dual_fmac_f32 v10, v0, v41
	s_wait_loadcnt 0x4
	v_mul_f32_e32 v0, v5, v46
	v_fma_f32 v11, v1, v41, -v11
	v_dual_fmac_f32 v12, v2, v43 :: v_dual_mul_f32 v1, v4, v46
	v_fma_f32 v13, v3, v43, -v13
	s_wait_loadcnt 0x2
	v_dual_mul_f32 v3, v6, v48 :: v_dual_fmac_f32 v0, v4, v45
	s_wait_loadcnt 0x0
	v_mul_f32_e32 v4, v9, v50
	v_dual_mul_f32 v2, v7, v48 :: v_dual_mul_f32 v15, v8, v50
	v_fma_f32 v1, v5, v45, -v1
	v_fma_f32 v3, v7, v47, -v3
	s_delay_alu instid0(VALU_DEP_4) | instskip(SKIP_3) | instid1(VALU_DEP_3)
	v_fmac_f32_e32 v4, v8, v49
	v_mul_lo_u16 v8, v20, 5
	v_fmac_f32_e32 v2, v6, v47
	v_fma_f32 v5, v9, v49, -v15
	v_and_b32_e32 v8, 0xffff, v8
	s_delay_alu instid0(VALU_DEP_1)
	v_lshlrev_b32_e32 v67, 3, v8
	ds_store_2addr_b64 v66, v[10:11], v[12:13] offset1:243
	ds_store_2addr_b64 v14, v[0:1], v[2:3] offset0:6 offset1:249
	ds_store_b64 v66, v[4:5] offset:7776
	global_wb scope:SCOPE_SE
	s_wait_dscnt 0x0
	s_wait_kmcnt 0x0
	s_barrier_signal -1
	s_barrier_wait -1
	global_inv scope:SCOPE_SE
	ds_load_2addr_b64 v[0:3], v66 offset1:243
	ds_load_2addr_b64 v[4:7], v14 offset0:6 offset1:249
	ds_load_b64 v[10:11], v66 offset:7776
	global_wb scope:SCOPE_SE
	s_wait_dscnt 0x0
	s_barrier_signal -1
	s_barrier_wait -1
	global_inv scope:SCOPE_SE
	v_dual_add_f32 v8, v0, v2 :: v_dual_add_f32 v19, v1, v3
	v_dual_add_f32 v9, v4, v6 :: v_dual_sub_f32 v12, v3, v11
	v_sub_f32_e32 v17, v4, v2
	v_dual_sub_f32 v13, v5, v7 :: v_dual_sub_f32 v14, v2, v4
	v_dual_add_f32 v21, v5, v7 :: v_dual_add_f32 v16, v2, v10
	v_sub_f32_e32 v18, v6, v10
	v_sub_f32_e32 v22, v2, v10
	v_dual_sub_f32 v23, v4, v6 :: v_dual_sub_f32 v2, v3, v5
	v_add_f32_e32 v25, v3, v11
	v_sub_f32_e32 v3, v5, v3
	v_add_f32_e32 v5, v19, v5
	v_dual_sub_f32 v15, v10, v6 :: v_dual_sub_f32 v24, v11, v7
	v_add_f32_e32 v4, v8, v4
	v_fma_f32 v8, -0.5, v9, v0
	v_fma_f32 v16, -0.5, v16, v0
	;; [unrolled: 1-line block ×3, first 2 shown]
	v_add_f32_e32 v5, v5, v7
	v_sub_f32_e32 v26, v7, v11
	v_dual_add_f32 v14, v14, v15 :: v_dual_add_f32 v15, v17, v18
	v_fma_f32 v17, -0.5, v25, v1
	v_add_f32_e32 v18, v2, v24
	v_dual_fmamk_f32 v0, v12, 0x3f737871, v8 :: v_dual_add_f32 v5, v5, v11
	v_dual_fmamk_f32 v2, v13, 0xbf737871, v16 :: v_dual_fmamk_f32 v1, v22, 0xbf737871, v9
	v_add_f32_e32 v19, v3, v26
	v_add_f32_e32 v4, v4, v6
	v_fmac_f32_e32 v8, 0xbf737871, v12
	v_dual_fmac_f32 v16, 0x3f737871, v13 :: v_dual_fmamk_f32 v3, v23, 0x3f737871, v17
	v_fmac_f32_e32 v17, 0xbf737871, v23
	v_fmac_f32_e32 v9, 0x3f737871, v22
	v_dual_add_f32 v4, v4, v10 :: v_dual_fmac_f32 v1, 0xbf167918, v23
	v_fmac_f32_e32 v0, 0x3f167918, v13
	s_delay_alu instid0(VALU_DEP_4)
	v_dual_fmac_f32 v2, 0x3f167918, v12 :: v_dual_fmac_f32 v17, 0x3f167918, v22
	v_dual_fmac_f32 v8, 0xbf167918, v13 :: v_dual_fmac_f32 v3, 0xbf167918, v22
	v_fmac_f32_e32 v16, 0xbf167918, v12
	v_fmac_f32_e32 v9, 0x3f167918, v23
	;; [unrolled: 1-line block ×3, first 2 shown]
	v_dual_fmac_f32 v2, 0x3e9e377a, v15 :: v_dual_fmac_f32 v1, 0x3e9e377a, v18
	v_dual_fmac_f32 v8, 0x3e9e377a, v14 :: v_dual_fmac_f32 v17, 0x3e9e377a, v19
	s_delay_alu instid0(VALU_DEP_4)
	v_dual_fmac_f32 v16, 0x3e9e377a, v15 :: v_dual_fmac_f32 v9, 0x3e9e377a, v18
	v_fmac_f32_e32 v3, 0x3e9e377a, v19
	ds_store_2addr_b64 v67, v[4:5], v[0:1] offset1:1
	ds_store_2addr_b64 v67, v[2:3], v[16:17] offset0:2 offset1:3
	ds_store_b64 v67, v[8:9] offset:32
	global_wb scope:SCOPE_SE
	s_wait_dscnt 0x0
	s_barrier_signal -1
	s_barrier_wait -1
	global_inv scope:SCOPE_SE
	ds_load_b64 v[10:11], v66
	ds_load_b64 v[18:19], v66 offset:3240
	ds_load_b64 v[14:15], v66 offset:6480
                                        ; implicit-def: $vgpr12
	s_and_saveexec_b32 s0, vcc_lo
	s_cbranch_execz .LBB0_3
; %bb.2:
	ds_load_b64 v[16:17], v66 offset:1944
	ds_load_b64 v[8:9], v66 offset:5184
	;; [unrolled: 1-line block ×3, first 2 shown]
.LBB0_3:
	s_wait_alu 0xfffe
	s_or_b32 exec_lo, exec_lo, s0
	v_and_b32_e32 v36, 0xff, v65
	v_add_co_u32 v77, s0, 0xf3, v65
	s_wait_alu 0xf1ff
	v_add_co_ci_u32_e64 v78, null, 0, 0, s0
	s_delay_alu instid0(VALU_DEP_3) | instskip(NEXT) | instid1(VALU_DEP_3)
	v_mul_lo_u16 v0, 0xcd, v36
	v_and_b32_e32 v55, 0xffff, v77
	s_delay_alu instid0(VALU_DEP_2) | instskip(NEXT) | instid1(VALU_DEP_2)
	v_lshrrev_b16 v20, 10, v0
	v_mul_u32_u24_e32 v1, 0xcccd, v55
	s_delay_alu instid0(VALU_DEP_2) | instskip(NEXT) | instid1(VALU_DEP_2)
	v_mul_lo_u16 v0, v20, 5
	v_lshrrev_b32_e32 v68, 18, v1
	v_and_b32_e32 v20, 0xffff, v20
	s_delay_alu instid0(VALU_DEP_3) | instskip(NEXT) | instid1(VALU_DEP_3)
	v_sub_nc_u16 v0, v65, v0
	v_mul_lo_u16 v1, v68, 5
	s_delay_alu instid0(VALU_DEP_3) | instskip(NEXT) | instid1(VALU_DEP_3)
	v_mul_u32_u24_e32 v20, 15, v20
	v_and_b32_e32 v21, 0xff, v0
	s_delay_alu instid0(VALU_DEP_3) | instskip(NEXT) | instid1(VALU_DEP_2)
	v_sub_nc_u16 v69, v77, v1
	v_lshlrev_b32_e32 v1, 4, v21
	s_delay_alu instid0(VALU_DEP_2)
	v_lshlrev_b16 v0, 1, v69
	v_add_lshl_u32 v70, v20, v21, 3
	global_load_b128 v[4:7], v1, s[10:11]
	s_wait_loadcnt_dscnt 0x1
	v_dual_mul_f32 v21, v18, v5 :: v_dual_and_b32 v0, 0xffff, v0
	s_wait_dscnt 0x0
	s_delay_alu instid0(VALU_DEP_1) | instskip(SKIP_2) | instid1(VALU_DEP_3)
	v_dual_mul_f32 v23, v14, v7 :: v_dual_lshlrev_b32 v0, 3, v0
	v_mul_f32_e32 v20, v19, v5
	v_mul_f32_e32 v22, v15, v7
	v_fmac_f32_e32 v23, v15, v6
	global_load_b128 v[0:3], v0, s[10:11]
	v_fma_f32 v18, v18, v4, -v20
	v_fmac_f32_e32 v21, v19, v4
	v_fma_f32 v14, v14, v6, -v22
	global_wb scope:SCOPE_SE
	s_wait_loadcnt 0x0
	s_barrier_signal -1
	s_barrier_wait -1
	global_inv scope:SCOPE_SE
	v_add_f32_e32 v24, v10, v18
	v_dual_mul_f32 v22, v12, v3 :: v_dual_mul_f32 v15, v9, v1
	v_dual_mul_f32 v19, v8, v1 :: v_dual_mul_f32 v20, v13, v3
	v_dual_add_f32 v25, v18, v14 :: v_dual_sub_f32 v26, v21, v23
	v_dual_add_f32 v27, v11, v21 :: v_dual_sub_f32 v18, v18, v14
	v_add_f32_e32 v21, v21, v23
	v_fma_f32 v15, v8, v0, -v15
	v_add_f32_e32 v8, v24, v14
	v_fma_f32 v20, v12, v2, -v20
	v_fma_f32 v10, -0.5, v25, v10
	v_fmac_f32_e32 v19, v9, v0
	v_dual_fmac_f32 v22, v13, v2 :: v_dual_fmac_f32 v11, -0.5, v21
	s_delay_alu instid0(VALU_DEP_4) | instskip(NEXT) | instid1(VALU_DEP_4)
	v_add_f32_e32 v14, v15, v20
	v_dual_fmamk_f32 v12, v26, 0x3f5db3d7, v10 :: v_dual_add_f32 v9, v27, v23
	s_delay_alu instid0(VALU_DEP_3) | instskip(SKIP_4) | instid1(VALU_DEP_4)
	v_dual_fmac_f32 v10, 0xbf5db3d7, v26 :: v_dual_fmamk_f32 v13, v18, 0xbf5db3d7, v11
	v_dual_fmac_f32 v11, 0x3f5db3d7, v18 :: v_dual_add_f32 v18, v16, v15
	v_add_f32_e32 v21, v19, v22
	v_sub_f32_e32 v23, v19, v22
	v_dual_add_f32 v19, v17, v19 :: v_dual_fmac_f32 v16, -0.5, v14
	v_add_f32_e32 v24, v18, v20
	s_delay_alu instid0(VALU_DEP_4) | instskip(NEXT) | instid1(VALU_DEP_3)
	v_dual_sub_f32 v14, v15, v20 :: v_dual_fmac_f32 v17, -0.5, v21
	v_add_f32_e32 v25, v19, v22
	s_delay_alu instid0(VALU_DEP_4)
	v_fmamk_f32 v20, v23, 0x3f5db3d7, v16
	v_fmac_f32_e32 v16, 0xbf5db3d7, v23
	ds_store_2addr_b64 v70, v[8:9], v[12:13] offset1:5
	ds_store_b64 v70, v[10:11] offset:80
	v_fmamk_f32 v21, v14, 0xbf5db3d7, v17
	v_fmac_f32_e32 v17, 0x3f5db3d7, v14
	s_and_saveexec_b32 s0, vcc_lo
	s_cbranch_execz .LBB0_5
; %bb.4:
	v_mad_u16 v8, v68, 15, v69
	s_delay_alu instid0(VALU_DEP_1) | instskip(NEXT) | instid1(VALU_DEP_1)
	v_and_b32_e32 v8, 0xffff, v8
	v_lshlrev_b32_e32 v8, 3, v8
	ds_store_2addr_b64 v8, v[24:25], v[20:21] offset1:5
	ds_store_b64 v8, v[16:17] offset:80
.LBB0_5:
	s_wait_alu 0xfffe
	s_or_b32 exec_lo, exec_lo, s0
	global_wb scope:SCOPE_SE
	s_wait_dscnt 0x0
	s_barrier_signal -1
	s_barrier_wait -1
	global_inv scope:SCOPE_SE
	ds_load_b64 v[18:19], v66
	ds_load_b64 v[26:27], v66 offset:3240
	ds_load_b64 v[22:23], v66 offset:6480
	s_and_saveexec_b32 s0, vcc_lo
	s_cbranch_execz .LBB0_7
; %bb.6:
	ds_load_b64 v[24:25], v66 offset:1944
	ds_load_b64 v[20:21], v66 offset:5184
	;; [unrolled: 1-line block ×3, first 2 shown]
.LBB0_7:
	s_wait_alu 0xfffe
	s_or_b32 exec_lo, exec_lo, s0
	v_mul_lo_u16 v8, 0x89, v36
	v_mul_u32_u24_e32 v9, 0x8889, v55
	s_delay_alu instid0(VALU_DEP_2) | instskip(NEXT) | instid1(VALU_DEP_2)
	v_lshrrev_b16 v28, 11, v8
	v_lshrrev_b32_e32 v29, 19, v9
	s_delay_alu instid0(VALU_DEP_2) | instskip(NEXT) | instid1(VALU_DEP_2)
	v_mul_lo_u16 v8, v28, 15
	v_mul_lo_u16 v9, v29, 15
	s_delay_alu instid0(VALU_DEP_2) | instskip(NEXT) | instid1(VALU_DEP_2)
	v_sub_nc_u16 v8, v65, v8
	v_sub_nc_u16 v30, v77, v9
	s_delay_alu instid0(VALU_DEP_2) | instskip(NEXT) | instid1(VALU_DEP_2)
	v_and_b32_e32 v31, 0xff, v8
	v_lshlrev_b16 v8, 4, v30
	v_mad_u16 v72, v29, 45, v30
	s_delay_alu instid0(VALU_DEP_3) | instskip(SKIP_4) | instid1(VALU_DEP_2)
	v_lshlrev_b32_e32 v9, 4, v31
	global_load_b128 v[12:15], v9, s[10:11] offset:80
	v_and_b32_e32 v28, 0xffff, v28
	s_wait_loadcnt_dscnt 0x0
	v_dual_mul_f32 v33, v22, v15 :: v_dual_and_b32 v8, 0xffff, v8
	v_mul_u32_u24_e32 v28, 45, v28
	s_delay_alu instid0(VALU_DEP_2) | instskip(NEXT) | instid1(VALU_DEP_2)
	v_fmac_f32_e32 v33, v23, v14
	v_add_lshl_u32 v71, v28, v31, 3
	v_mul_f32_e32 v31, v26, v13
	v_add_co_u32 v8, s0, s10, v8
	s_wait_alu 0xf1ff
	v_add_co_ci_u32_e64 v9, null, s11, 0, s0
	v_mul_f32_e32 v28, v27, v13
	global_load_b128 v[8:11], v[8:9], off offset:80
	v_mul_f32_e32 v32, v23, v15
	v_fma_f32 v26, v26, v12, -v28
	v_fmac_f32_e32 v31, v27, v12
	global_wb scope:SCOPE_SE
	s_wait_loadcnt 0x0
	s_barrier_signal -1
	s_barrier_wait -1
	global_inv scope:SCOPE_SE
	v_mul_f32_e32 v28, v20, v9
	v_mul_f32_e32 v27, v21, v9
	v_fma_f32 v22, v22, v14, -v32
	v_mul_f32_e32 v32, v17, v11
	v_mul_f32_e32 v34, v16, v11
	v_fmac_f32_e32 v28, v21, v8
	v_fma_f32 v20, v20, v8, -v27
	v_sub_f32_e32 v21, v31, v33
	v_fma_f32 v23, v16, v10, -v32
	v_fmac_f32_e32 v34, v17, v10
	v_dual_add_f32 v16, v18, v26 :: v_dual_add_f32 v27, v19, v31
	v_add_f32_e32 v17, v26, v22
	v_dual_add_f32 v31, v31, v33 :: v_dual_sub_f32 v26, v26, v22
	s_delay_alu instid0(VALU_DEP_3) | instskip(SKIP_1) | instid1(VALU_DEP_4)
	v_add_f32_e32 v16, v16, v22
	v_add_f32_e32 v22, v24, v20
	v_fma_f32 v18, -0.5, v17, v18
	v_add_f32_e32 v17, v27, v33
	v_fmac_f32_e32 v19, -0.5, v31
	v_add_f32_e32 v27, v20, v23
	v_sub_f32_e32 v31, v28, v34
	v_dual_add_f32 v33, v25, v28 :: v_dual_add_f32 v28, v28, v34
	v_dual_sub_f32 v35, v20, v23 :: v_dual_fmamk_f32 v20, v21, 0x3f5db3d7, v18
	v_dual_fmac_f32 v18, 0xbf5db3d7, v21 :: v_dual_fmamk_f32 v21, v26, 0xbf5db3d7, v19
	s_delay_alu instid0(VALU_DEP_3) | instskip(SKIP_1) | instid1(VALU_DEP_2)
	v_dual_fmac_f32 v24, -0.5, v27 :: v_dual_fmac_f32 v25, -0.5, v28
	v_dual_fmac_f32 v19, 0x3f5db3d7, v26 :: v_dual_add_f32 v32, v22, v23
	v_dual_add_f32 v33, v33, v34 :: v_dual_fmamk_f32 v26, v31, 0x3f5db3d7, v24
	s_delay_alu instid0(VALU_DEP_3)
	v_dual_fmac_f32 v24, 0xbf5db3d7, v31 :: v_dual_fmamk_f32 v27, v35, 0xbf5db3d7, v25
	v_fmac_f32_e32 v25, 0x3f5db3d7, v35
	ds_store_2addr_b64 v71, v[16:17], v[20:21] offset1:15
	ds_store_b64 v71, v[18:19] offset:240
	s_and_saveexec_b32 s0, vcc_lo
	s_cbranch_execz .LBB0_9
; %bb.8:
	v_and_b32_e32 v16, 0xffff, v72
	s_delay_alu instid0(VALU_DEP_1)
	v_lshlrev_b32_e32 v16, 3, v16
	ds_store_2addr_b64 v16, v[32:33], v[26:27] offset1:15
	ds_store_b64 v16, v[24:25] offset:240
.LBB0_9:
	s_wait_alu 0xfffe
	s_or_b32 exec_lo, exec_lo, s0
	global_wb scope:SCOPE_SE
	s_wait_dscnt 0x0
	s_barrier_signal -1
	s_barrier_wait -1
	global_inv scope:SCOPE_SE
	ds_load_b64 v[28:29], v66
	ds_load_b64 v[34:35], v66 offset:3240
	ds_load_b64 v[30:31], v66 offset:6480
	s_and_saveexec_b32 s0, vcc_lo
	s_cbranch_execz .LBB0_11
; %bb.10:
	ds_load_b64 v[32:33], v66 offset:1944
	ds_load_b64 v[26:27], v66 offset:5184
	;; [unrolled: 1-line block ×3, first 2 shown]
.LBB0_11:
	s_wait_alu 0xfffe
	s_or_b32 exec_lo, exec_lo, s0
	v_mul_lo_u16 v16, 0x6d, v36
	v_mul_u32_u24_e32 v18, 0x2d83, v55
	s_delay_alu instid0(VALU_DEP_2) | instskip(NEXT) | instid1(VALU_DEP_2)
	v_lshrrev_b16 v16, 8, v16
	v_lshrrev_b32_e32 v36, 19, v18
	s_delay_alu instid0(VALU_DEP_2) | instskip(NEXT) | instid1(VALU_DEP_1)
	v_sub_nc_u16 v17, v65, v16
	v_lshrrev_b16 v17, 1, v17
	s_delay_alu instid0(VALU_DEP_1) | instskip(NEXT) | instid1(VALU_DEP_1)
	v_and_b32_e32 v17, 0x7f, v17
	v_add_nc_u16 v16, v17, v16
	s_delay_alu instid0(VALU_DEP_1) | instskip(SKIP_1) | instid1(VALU_DEP_2)
	v_lshrrev_b16 v37, 5, v16
	v_mul_lo_u16 v16, v36, 45
	v_mul_lo_u16 v17, v37, 45
	s_delay_alu instid0(VALU_DEP_2) | instskip(NEXT) | instid1(VALU_DEP_2)
	v_sub_nc_u16 v38, v77, v16
	v_sub_nc_u16 v16, v65, v17
	s_delay_alu instid0(VALU_DEP_2) | instskip(SKIP_1) | instid1(VALU_DEP_3)
	v_lshlrev_b16 v17, 4, v38
	v_mad_u16 v73, 0x87, v36, v38
	v_and_b32_e32 v39, 0xff, v16
	s_delay_alu instid0(VALU_DEP_3) | instskip(NEXT) | instid1(VALU_DEP_2)
	v_and_b32_e32 v16, 0xffff, v17
	v_lshlrev_b32_e32 v18, 4, v39
	s_delay_alu instid0(VALU_DEP_2)
	v_add_co_u32 v16, s0, s10, v16
	s_wait_alu 0xf1ff
	v_add_co_ci_u32_e64 v17, null, s11, 0, s0
	s_clause 0x1
	global_load_b128 v[20:23], v18, s[10:11] offset:320
	global_load_b128 v[16:19], v[16:17], off offset:320
	v_and_b32_e32 v37, 0xffff, v37
	global_wb scope:SCOPE_SE
	s_wait_loadcnt_dscnt 0x0
	s_barrier_signal -1
	s_barrier_wait -1
	global_inv scope:SCOPE_SE
	v_mul_f32_e32 v36, v35, v21
	v_mul_f32_e32 v54, v24, v19
	v_mul_u32_u24_e32 v37, 0x87, v37
	v_mul_f32_e32 v38, v31, v23
	v_mul_f32_e32 v51, v27, v17
	v_dual_mul_f32 v52, v26, v17 :: v_dual_mul_f32 v53, v25, v19
	s_delay_alu instid0(VALU_DEP_4)
	v_add_lshl_u32 v74, v37, v39, 3
	v_mul_f32_e32 v37, v34, v21
	v_mul_f32_e32 v39, v30, v23
	v_fma_f32 v34, v34, v20, -v36
	v_fma_f32 v30, v30, v22, -v38
	v_fmac_f32_e32 v52, v27, v16
	v_fmac_f32_e32 v37, v35, v20
	v_fma_f32 v27, v24, v18, -v53
	v_add_f32_e32 v24, v28, v34
	v_fmac_f32_e32 v54, v25, v18
	v_fma_f32 v26, v26, v16, -v51
	v_fmac_f32_e32 v39, v31, v22
	v_add_f32_e32 v25, v34, v30
	v_dual_sub_f32 v34, v34, v30 :: v_dual_add_f32 v35, v29, v37
	s_delay_alu instid0(VALU_DEP_4)
	v_sub_f32_e32 v58, v26, v27
	v_add_f32_e32 v38, v26, v27
	v_sub_f32_e32 v31, v37, v39
	v_dual_add_f32 v36, v37, v39 :: v_dual_add_f32 v37, v32, v26
	v_fma_f32 v28, -0.5, v25, v28
	v_add_f32_e32 v57, v52, v54
	v_dual_sub_f32 v53, v52, v54 :: v_dual_add_f32 v56, v33, v52
	s_delay_alu instid0(VALU_DEP_4) | instskip(NEXT) | instid1(VALU_DEP_3)
	v_dual_fmac_f32 v29, -0.5, v36 :: v_dual_fmac_f32 v32, -0.5, v38
	v_dual_fmamk_f32 v26, v31, 0x3f5db3d7, v28 :: v_dual_fmac_f32 v33, -0.5, v57
	v_fmac_f32_e32 v28, 0xbf5db3d7, v31
	v_dual_add_f32 v24, v24, v30 :: v_dual_add_f32 v25, v35, v39
	v_dual_add_f32 v51, v37, v27 :: v_dual_add_f32 v52, v56, v54
	v_fmamk_f32 v27, v34, 0xbf5db3d7, v29
	v_dual_fmac_f32 v29, 0x3f5db3d7, v34 :: v_dual_fmamk_f32 v36, v53, 0x3f5db3d7, v32
	v_dual_fmac_f32 v32, 0xbf5db3d7, v53 :: v_dual_fmamk_f32 v37, v58, 0xbf5db3d7, v33
	v_fmac_f32_e32 v33, 0x3f5db3d7, v58
	ds_store_2addr_b64 v74, v[24:25], v[26:27] offset1:45
	ds_store_b64 v74, v[28:29] offset:720
	s_and_saveexec_b32 s0, vcc_lo
	s_cbranch_execz .LBB0_13
; %bb.12:
	v_and_b32_e32 v24, 0xffff, v73
	s_delay_alu instid0(VALU_DEP_1)
	v_lshlrev_b32_e32 v24, 3, v24
	ds_store_2addr_b64 v24, v[51:52], v[36:37] offset1:45
	ds_store_b64 v24, v[32:33] offset:720
.LBB0_13:
	s_wait_alu 0xfffe
	s_or_b32 exec_lo, exec_lo, s0
	global_wb scope:SCOPE_SE
	s_wait_dscnt 0x0
	s_barrier_signal -1
	s_barrier_wait -1
	global_inv scope:SCOPE_SE
	ds_load_b64 v[34:35], v66
	ds_load_b64 v[53:54], v66 offset:3240
	ds_load_b64 v[38:39], v66 offset:6480
	s_and_saveexec_b32 s0, vcc_lo
	s_cbranch_execz .LBB0_15
; %bb.14:
	ds_load_b64 v[51:52], v66 offset:1944
	ds_load_b64 v[36:37], v66 offset:5184
	;; [unrolled: 1-line block ×3, first 2 shown]
.LBB0_15:
	s_wait_alu 0xfffe
	s_or_b32 exec_lo, exec_lo, s0
	v_add_co_u32 v24, s0, 0xffffff79, v65
	s_wait_alu 0xf1ff
	v_add_co_ci_u32_e64 v25, null, 0, -1, s0
	v_cmp_gt_u16_e64 s0, 0x87, v65
	v_mul_u32_u24_e32 v26, 0x795d, v55
	s_wait_alu 0xf1ff
	s_delay_alu instid0(VALU_DEP_2) | instskip(SKIP_1) | instid1(VALU_DEP_3)
	v_cndmask_b32_e64 v56, v25, 0, s0
	v_cndmask_b32_e64 v55, v24, v65, s0
	v_lshrrev_b32_e32 v59, 22, v26
	s_delay_alu instid0(VALU_DEP_2) | instskip(NEXT) | instid1(VALU_DEP_2)
	v_lshlrev_b64_e32 v[24:25], 4, v[55:56]
	v_mul_lo_u16 v26, 0x87, v59
	s_delay_alu instid0(VALU_DEP_1) | instskip(NEXT) | instid1(VALU_DEP_3)
	v_sub_nc_u16 v56, v77, v26
	v_add_co_u32 v24, s0, s10, v24
	s_wait_alu 0xf1ff
	s_delay_alu instid0(VALU_DEP_4) | instskip(NEXT) | instid1(VALU_DEP_3)
	v_add_co_ci_u32_e64 v25, s0, s11, v25, s0
	v_lshlrev_b16 v26, 4, v56
	v_mad_u16 v76, 0x195, v59, v56
	global_load_b128 v[28:31], v[24:25], off offset:1040
	s_wait_loadcnt_dscnt 0x0
	v_dual_mul_f32 v61, v39, v31 :: v_dual_and_b32 v24, 0xffff, v26
	s_delay_alu instid0(VALU_DEP_1)
	v_add_co_u32 v24, s0, s10, v24
	s_wait_alu 0xf1ff
	v_add_co_ci_u32_e64 v25, null, s11, 0, s0
	v_cmp_lt_u16_e64 s0, 0x86, v65
	v_mul_f32_e32 v60, v53, v29
	global_load_b128 v[24:27], v[24:25], off offset:1040
	global_wb scope:SCOPE_SE
	s_wait_loadcnt 0x0
	s_wait_alu 0xf1ff
	v_cndmask_b32_e64 v57, 0, 0x195, s0
	v_fmac_f32_e32 v60, v54, v28
	v_mul_f32_e32 v62, v38, v31
	v_fma_f32 v38, v38, v30, -v61
	s_barrier_signal -1
	v_add_lshl_u32 v75, v55, v57, 3
	v_add_f32_e32 v57, v35, v60
	v_fmac_f32_e32 v62, v39, v30
	v_mul_f32_e32 v58, v54, v29
	s_barrier_wait -1
	global_inv scope:SCOPE_SE
	v_sub_f32_e32 v55, v60, v62
	v_fma_f32 v53, v53, v28, -v58
	s_delay_alu instid0(VALU_DEP_1)
	v_dual_add_f32 v39, v34, v53 :: v_dual_add_f32 v54, v53, v38
	v_sub_f32_e32 v53, v53, v38
	v_dual_add_f32 v58, v60, v62 :: v_dual_mul_f32 v63, v33, v27
	v_mul_f32_e32 v61, v36, v25
	v_mul_f32_e32 v64, v32, v27
	v_add_f32_e32 v38, v39, v38
	v_add_f32_e32 v39, v57, v62
	v_fmac_f32_e32 v35, -0.5, v58
	v_fmac_f32_e32 v61, v37, v24
	v_fmac_f32_e32 v64, v33, v26
	v_fma_f32 v34, -0.5, v54, v34
	s_delay_alu instid0(VALU_DEP_4) | instskip(NEXT) | instid1(VALU_DEP_3)
	v_fmamk_f32 v33, v53, 0xbf5db3d7, v35
	v_dual_fmac_f32 v35, 0x3f5db3d7, v53 :: v_dual_sub_f32 v58, v61, v64
	v_add_f32_e32 v57, v52, v61
	v_mul_f32_e32 v60, v37, v25
	v_fma_f32 v37, v32, v26, -v63
	s_delay_alu instid0(VALU_DEP_2) | instskip(SKIP_2) | instid1(VALU_DEP_3)
	v_fma_f32 v36, v36, v24, -v60
	v_fmamk_f32 v32, v55, 0x3f5db3d7, v34
	v_dual_fmac_f32 v34, 0xbf5db3d7, v55 :: v_dual_add_f32 v55, v61, v64
	v_dual_add_f32 v53, v36, v37 :: v_dual_add_f32 v54, v51, v36
	ds_store_2addr_b64 v75, v[38:39], v[32:33] offset1:135
	ds_store_b64 v75, v[34:35] offset:2160
	v_dual_fmac_f32 v52, -0.5, v55 :: v_dual_fmac_f32 v51, -0.5, v53
	v_sub_f32_e32 v36, v36, v37
	v_dual_add_f32 v53, v54, v37 :: v_dual_add_f32 v54, v57, v64
	s_delay_alu instid0(VALU_DEP_3) | instskip(NEXT) | instid1(VALU_DEP_3)
	v_fmamk_f32 v57, v58, 0x3f5db3d7, v51
	v_dual_fmac_f32 v51, 0xbf5db3d7, v58 :: v_dual_fmamk_f32 v58, v36, 0xbf5db3d7, v52
	v_fmac_f32_e32 v52, 0x3f5db3d7, v36
	s_and_saveexec_b32 s0, vcc_lo
	s_cbranch_execz .LBB0_17
; %bb.16:
	v_and_b32_e32 v32, 0xffff, v76
	s_delay_alu instid0(VALU_DEP_1)
	v_lshlrev_b32_e32 v32, 3, v32
	ds_store_2addr_b64 v32, v[53:54], v[57:58] offset1:135
	ds_store_b64 v32, v[51:52] offset:2160
.LBB0_17:
	s_wait_alu 0xfffe
	s_or_b32 exec_lo, exec_lo, s0
	global_wb scope:SCOPE_SE
	s_wait_dscnt 0x0
	s_barrier_signal -1
	s_barrier_wait -1
	global_inv scope:SCOPE_SE
	ds_load_b64 v[59:60], v66
	ds_load_b64 v[63:64], v66 offset:3240
	ds_load_b64 v[61:62], v66 offset:6480
	v_add_co_u32 v55, s0, s8, v66
	s_wait_alu 0xf1ff
	v_add_co_ci_u32_e64 v56, null, s9, 0, s0
	s_and_saveexec_b32 s0, vcc_lo
	s_cbranch_execz .LBB0_19
; %bb.18:
	ds_load_b64 v[53:54], v66 offset:1944
	ds_load_b64 v[57:58], v66 offset:5184
	;; [unrolled: 1-line block ×3, first 2 shown]
.LBB0_19:
	s_wait_alu 0xfffe
	s_or_b32 exec_lo, exec_lo, s0
	v_add_co_u32 v32, s0, 0xffffff5e, v65
	s_wait_alu 0xf1ff
	v_add_co_ci_u32_e64 v33, null, 0, -1, s0
	s_delay_alu instid0(VALU_DEP_1) | instskip(SKIP_3) | instid1(VALU_DEP_1)
	v_dual_cndmask_b32 v33, v33, v78 :: v_dual_lshlrev_b32 v34, 4, v65
	global_load_b128 v[36:39], v34, s[10:11] offset:3200
	s_wait_loadcnt_dscnt 0x0
	v_dual_cndmask_b32 v32, v32, v77 :: v_dual_mul_f32 v79, v62, v39
	v_lshlrev_b64_e32 v[32:33], 4, v[32:33]
	v_dual_mul_f32 v77, v64, v37 :: v_dual_mul_f32 v80, v61, v39
	s_delay_alu instid0(VALU_DEP_2) | instskip(SKIP_1) | instid1(VALU_DEP_3)
	v_add_co_u32 v32, s0, s10, v32
	s_wait_alu 0xf1ff
	v_add_co_ci_u32_e64 v33, s0, s11, v33, s0
	global_load_b128 v[32:35], v[32:33], off offset:3200
	v_mul_f32_e32 v78, v63, v37
	v_fma_f32 v63, v63, v36, -v77
	s_delay_alu instid0(VALU_DEP_1)
	v_add_f32_e32 v77, v59, v63
	s_wait_loadcnt 0x0
	v_mul_f32_e32 v85, v52, v35
	v_fmac_f32_e32 v78, v64, v36
	v_fma_f32 v64, v61, v38, -v79
	v_dual_fmac_f32 v80, v62, v38 :: v_dual_mul_f32 v61, v51, v35
	s_delay_alu instid0(VALU_DEP_3) | instskip(NEXT) | instid1(VALU_DEP_3)
	v_dual_mul_f32 v62, v57, v33 :: v_dual_add_f32 v83, v60, v78
	v_add_f32_e32 v81, v63, v64
	s_delay_alu instid0(VALU_DEP_3) | instskip(SKIP_4) | instid1(VALU_DEP_4)
	v_sub_f32_e32 v82, v78, v80
	v_add_f32_e32 v78, v78, v80
	v_dual_sub_f32 v84, v63, v64 :: v_dual_mul_f32 v63, v58, v33
	v_fmac_f32_e32 v61, v52, v34
	v_fma_f32 v59, -0.5, v81, v59
	v_dual_add_f32 v79, v77, v64 :: v_dual_fmac_f32 v60, -0.5, v78
	s_delay_alu instid0(VALU_DEP_4) | instskip(SKIP_4) | instid1(VALU_DEP_4)
	v_fma_f32 v63, v57, v32, -v63
	v_fma_f32 v57, v51, v34, -v85
	v_fmac_f32_e32 v62, v58, v32
	v_dual_add_f32 v80, v83, v80 :: v_dual_fmamk_f32 v81, v82, 0x3f5db3d7, v59
	v_fmac_f32_e32 v59, 0xbf5db3d7, v82
	v_add_f32_e32 v51, v63, v57
	s_delay_alu instid0(VALU_DEP_4)
	v_add_f32_e32 v52, v62, v61
	v_sub_f32_e32 v64, v62, v61
	v_fmamk_f32 v82, v84, 0xbf5db3d7, v60
	v_fmac_f32_e32 v60, 0x3f5db3d7, v84
	v_fma_f32 v58, -0.5, v51, v53
	v_sub_f32_e32 v78, v63, v57
	v_fma_f32 v77, -0.5, v52, v54
	ds_store_b64 v66, v[79:80]
	ds_store_b64 v66, v[81:82] offset:3240
	ds_store_b64 v66, v[59:60] offset:6480
	v_fmamk_f32 v51, v64, 0xbf5db3d7, v58
	v_fmamk_f32 v52, v78, 0x3f5db3d7, v77
	s_and_saveexec_b32 s0, vcc_lo
	s_cbranch_execz .LBB0_21
; %bb.20:
	v_mul_f32_e32 v59, 0x3f5db3d7, v78
	v_dual_add_f32 v60, v54, v62 :: v_dual_add_f32 v53, v53, v63
	v_mul_f32_e32 v62, 0x3f5db3d7, v64
	s_delay_alu instid0(VALU_DEP_3) | instskip(NEXT) | instid1(VALU_DEP_3)
	v_sub_f32_e32 v54, v77, v59
	v_add_f32_e32 v60, v60, v61
	s_delay_alu instid0(VALU_DEP_4) | instskip(NEXT) | instid1(VALU_DEP_4)
	v_add_f32_e32 v59, v53, v57
	v_add_f32_e32 v53, v62, v58
	ds_store_b64 v66, v[59:60] offset:1944
	ds_store_b64 v66, v[53:54] offset:5184
	;; [unrolled: 1-line block ×3, first 2 shown]
.LBB0_21:
	s_wait_alu 0xfffe
	s_or_b32 exec_lo, exec_lo, s0
	s_add_nc_u64 s[0:1], s[8:9], 0x25f8
	global_wb scope:SCOPE_SE
	s_wait_dscnt 0x0
	s_barrier_signal -1
	s_barrier_wait -1
	global_inv scope:SCOPE_SE
	s_clause 0x4
	global_load_b64 v[57:58], v[55:56], off offset:9720
	global_load_b64 v[59:60], v66, s[0:1] offset:1944
	global_load_b64 v[61:62], v66, s[0:1] offset:3888
	;; [unrolled: 1-line block ×4, first 2 shown]
	ds_load_2addr_b64 v[53:56], v66 offset1:243
	s_wait_loadcnt_dscnt 0x400
	v_mul_f32_e32 v79, v54, v58
	s_wait_loadcnt 0x3
	v_dual_mul_f32 v80, v53, v58 :: v_dual_mul_f32 v81, v56, v60
	v_mul_f32_e32 v58, v55, v60
	s_delay_alu instid0(VALU_DEP_3) | instskip(NEXT) | instid1(VALU_DEP_3)
	v_fma_f32 v79, v53, v57, -v79
	v_fmac_f32_e32 v80, v54, v57
	s_delay_alu instid0(VALU_DEP_4) | instskip(NEXT) | instid1(VALU_DEP_4)
	v_fma_f32 v57, v55, v59, -v81
	v_dual_fmac_f32 v58, v56, v59 :: v_dual_add_nc_u32 v81, 0xf00, v66
	ds_store_2addr_b64 v66, v[79:80], v[57:58] offset1:243
	ds_load_2addr_b64 v[53:56], v81 offset0:6 offset1:249
	ds_load_b64 v[57:58], v66 offset:7776
	s_wait_loadcnt_dscnt 0x201
	v_mul_f32_e32 v59, v54, v62
	s_wait_loadcnt 0x1
	v_dual_mul_f32 v60, v53, v62 :: v_dual_mul_f32 v79, v56, v64
	v_mul_f32_e32 v62, v55, v64
	s_wait_loadcnt_dscnt 0x0
	v_mul_f32_e32 v80, v58, v78
	v_mul_f32_e32 v64, v57, v78
	v_fma_f32 v59, v53, v61, -v59
	v_fmac_f32_e32 v60, v54, v61
	v_fma_f32 v61, v55, v63, -v79
	v_fmac_f32_e32 v62, v56, v63
	;; [unrolled: 2-line block ×3, first 2 shown]
	ds_store_2addr_b64 v81, v[59:60], v[61:62] offset0:6 offset1:249
	ds_store_b64 v66, v[63:64] offset:7776
	global_wb scope:SCOPE_SE
	s_wait_dscnt 0x0
	s_barrier_signal -1
	s_barrier_wait -1
	global_inv scope:SCOPE_SE
	ds_load_2addr_b64 v[53:56], v66 offset1:243
	ds_load_2addr_b64 v[57:60], v81 offset0:6 offset1:249
	ds_load_b64 v[61:62], v66 offset:7776
	global_wb scope:SCOPE_SE
	s_wait_dscnt 0x0
	s_barrier_signal -1
	s_barrier_wait -1
	global_inv scope:SCOPE_SE
	v_add_f32_e32 v63, v53, v55
	v_sub_f32_e32 v87, v57, v59
	v_dual_add_f32 v64, v57, v59 :: v_dual_add_f32 v85, v58, v60
	v_dual_sub_f32 v79, v55, v57 :: v_dual_sub_f32 v80, v61, v59
	v_add_f32_e32 v89, v56, v62
	v_dual_add_f32 v81, v55, v61 :: v_dual_sub_f32 v82, v57, v55
	v_dual_add_f32 v63, v63, v57 :: v_dual_add_f32 v84, v54, v56
	v_dual_sub_f32 v77, v56, v62 :: v_dual_sub_f32 v78, v58, v60
	v_sub_f32_e32 v83, v59, v61
	v_dual_sub_f32 v86, v55, v61 :: v_dual_sub_f32 v55, v56, v58
	v_fma_f32 v57, -0.5, v64, v53
	v_sub_f32_e32 v88, v62, v60
	v_sub_f32_e32 v56, v58, v56
	;; [unrolled: 1-line block ×3, first 2 shown]
	v_fma_f32 v53, -0.5, v81, v53
	v_add_f32_e32 v64, v79, v80
	v_dual_add_f32 v63, v63, v59 :: v_dual_add_f32 v80, v84, v58
	v_fma_f32 v58, -0.5, v85, v54
	v_fma_f32 v54, -0.5, v89, v54
	v_add_f32_e32 v79, v82, v83
	s_delay_alu instid0(VALU_DEP_4)
	v_add_f32_e32 v61, v63, v61
	v_add_f32_e32 v81, v55, v88
	v_fmamk_f32 v55, v77, 0xbf737871, v57
	v_fmac_f32_e32 v57, 0x3f737871, v77
	v_dual_fmamk_f32 v59, v78, 0x3f737871, v53 :: v_dual_add_f32 v82, v56, v90
	v_fmamk_f32 v56, v86, 0x3f737871, v58
	v_dual_fmac_f32 v53, 0xbf737871, v78 :: v_dual_add_f32 v80, v80, v60
	v_fmamk_f32 v60, v87, 0xbf737871, v54
	v_fmac_f32_e32 v54, 0x3f737871, v87
	v_fmac_f32_e32 v58, 0xbf737871, v86
	;; [unrolled: 1-line block ×3, first 2 shown]
	v_dual_fmac_f32 v57, 0x3f167918, v78 :: v_dual_fmac_f32 v56, 0x3f167918, v87
	v_fmac_f32_e32 v59, 0xbf167918, v77
	v_dual_fmac_f32 v53, 0x3f167918, v77 :: v_dual_add_f32 v62, v80, v62
	v_fmac_f32_e32 v60, 0x3f167918, v86
	v_fmac_f32_e32 v54, 0xbf167918, v86
	;; [unrolled: 1-line block ×3, first 2 shown]
	v_dual_fmac_f32 v55, 0x3e9e377a, v64 :: v_dual_fmac_f32 v56, 0x3e9e377a, v81
	s_delay_alu instid0(VALU_DEP_4) | instskip(NEXT) | instid1(VALU_DEP_4)
	v_dual_fmac_f32 v57, 0x3e9e377a, v64 :: v_dual_fmac_f32 v60, 0x3e9e377a, v82
	v_dual_fmac_f32 v59, 0x3e9e377a, v79 :: v_dual_fmac_f32 v54, 0x3e9e377a, v82
	s_delay_alu instid0(VALU_DEP_4)
	v_dual_fmac_f32 v53, 0x3e9e377a, v79 :: v_dual_fmac_f32 v58, 0x3e9e377a, v81
	ds_store_2addr_b64 v67, v[61:62], v[55:56] offset1:1
	ds_store_2addr_b64 v67, v[59:60], v[53:54] offset0:2 offset1:3
	ds_store_b64 v67, v[57:58] offset:32
	global_wb scope:SCOPE_SE
	s_wait_dscnt 0x0
	s_barrier_signal -1
	s_barrier_wait -1
	global_inv scope:SCOPE_SE
	ds_load_b64 v[55:56], v66
	ds_load_b64 v[61:62], v66 offset:3240
	ds_load_b64 v[59:60], v66 offset:6480
	s_and_saveexec_b32 s0, vcc_lo
	s_cbranch_execz .LBB0_23
; %bb.22:
	ds_load_b64 v[53:54], v66 offset:1944
	ds_load_b64 v[57:58], v66 offset:5184
	;; [unrolled: 1-line block ×3, first 2 shown]
.LBB0_23:
	s_wait_alu 0xfffe
	s_or_b32 exec_lo, exec_lo, s0
	s_wait_dscnt 0x0
	v_dual_mul_f32 v63, v5, v62 :: v_dual_mul_f32 v64, v7, v60
	v_mul_f32_e32 v5, v5, v61
	global_wb scope:SCOPE_SE
	s_barrier_signal -1
	s_barrier_wait -1
	v_fmac_f32_e32 v64, v6, v59
	v_fma_f32 v5, v4, v62, -v5
	v_fmac_f32_e32 v63, v4, v61
	v_mul_f32_e32 v61, v1, v58
	global_inv scope:SCOPE_SE
	v_add_f32_e32 v4, v55, v63
	v_mul_f32_e32 v7, v7, v59
	v_mul_f32_e32 v59, v3, v52
	v_mul_f32_e32 v3, v3, v51
	v_fmac_f32_e32 v61, v0, v57
	v_add_f32_e32 v4, v4, v64
	v_fma_f32 v7, v6, v60, -v7
	v_fmac_f32_e32 v59, v2, v51
	v_fma_f32 v3, v2, v52, -v3
	s_delay_alu instid0(VALU_DEP_3) | instskip(SKIP_1) | instid1(VALU_DEP_1)
	v_add_f32_e32 v2, v5, v7
	v_mul_f32_e32 v1, v1, v57
	v_fma_f32 v0, v0, v58, -v1
	v_add_f32_e32 v1, v63, v64
	s_delay_alu instid0(VALU_DEP_2) | instskip(NEXT) | instid1(VALU_DEP_2)
	v_add_f32_e32 v52, v54, v0
	v_fma_f32 v55, -0.5, v1, v55
	v_sub_f32_e32 v1, v5, v7
	v_dual_add_f32 v5, v56, v5 :: v_dual_fmac_f32 v56, -0.5, v2
	v_dual_sub_f32 v2, v63, v64 :: v_dual_add_f32 v51, v53, v61
	s_delay_alu instid0(VALU_DEP_3) | instskip(NEXT) | instid1(VALU_DEP_3)
	v_fmamk_f32 v6, v1, 0xbf5db3d7, v55
	v_add_f32_e32 v5, v5, v7
	v_fmac_f32_e32 v55, 0x3f5db3d7, v1
	s_delay_alu instid0(VALU_DEP_4) | instskip(SKIP_2) | instid1(VALU_DEP_1)
	v_fmamk_f32 v7, v2, 0x3f5db3d7, v56
	v_fmac_f32_e32 v56, 0xbf5db3d7, v2
	v_add_f32_e32 v2, v0, v3
	v_dual_fmac_f32 v54, -0.5, v2 :: v_dual_add_f32 v1, v61, v59
	v_sub_f32_e32 v57, v61, v59
	s_delay_alu instid0(VALU_DEP_2) | instskip(SKIP_2) | instid1(VALU_DEP_2)
	v_fmac_f32_e32 v53, -0.5, v1
	v_sub_f32_e32 v1, v0, v3
	v_add_f32_e32 v0, v51, v59
	v_fmamk_f32 v2, v1, 0xbf5db3d7, v53
	v_fmac_f32_e32 v53, 0x3f5db3d7, v1
	v_add_f32_e32 v1, v52, v3
	v_fmamk_f32 v3, v57, 0x3f5db3d7, v54
	v_fmac_f32_e32 v54, 0xbf5db3d7, v57
	ds_store_2addr_b64 v70, v[4:5], v[6:7] offset1:5
	ds_store_b64 v70, v[55:56] offset:80
	s_and_saveexec_b32 s0, vcc_lo
	s_cbranch_execz .LBB0_25
; %bb.24:
	v_mad_u16 v4, v68, 15, v69
	s_delay_alu instid0(VALU_DEP_1) | instskip(NEXT) | instid1(VALU_DEP_1)
	v_and_b32_e32 v4, 0xffff, v4
	v_lshlrev_b32_e32 v4, 3, v4
	ds_store_2addr_b64 v4, v[0:1], v[2:3] offset1:5
	ds_store_b64 v4, v[53:54] offset:80
.LBB0_25:
	s_wait_alu 0xfffe
	s_or_b32 exec_lo, exec_lo, s0
	global_wb scope:SCOPE_SE
	s_wait_dscnt 0x0
	s_barrier_signal -1
	s_barrier_wait -1
	global_inv scope:SCOPE_SE
	ds_load_b64 v[4:5], v66
	ds_load_b64 v[51:52], v66 offset:3240
	ds_load_b64 v[6:7], v66 offset:6480
	s_and_saveexec_b32 s0, vcc_lo
	s_cbranch_execz .LBB0_27
; %bb.26:
	ds_load_b64 v[0:1], v66 offset:1944
	ds_load_b64 v[2:3], v66 offset:5184
	ds_load_b64 v[53:54], v66 offset:8424
.LBB0_27:
	s_wait_alu 0xfffe
	s_or_b32 exec_lo, exec_lo, s0
	s_wait_dscnt 0x0
	v_dual_mul_f32 v55, v13, v52 :: v_dual_mul_f32 v56, v15, v7
	v_mul_f32_e32 v13, v13, v51
	v_mul_f32_e32 v15, v15, v6
	global_wb scope:SCOPE_SE
	v_dual_fmac_f32 v55, v12, v51 :: v_dual_fmac_f32 v56, v14, v6
	v_mul_f32_e32 v6, v9, v2
	v_fma_f32 v12, v12, v52, -v13
	v_mul_f32_e32 v13, v9, v3
	v_fma_f32 v7, v14, v7, -v15
	;; [unrolled: 2-line block ×3, first 2 shown]
	v_add_f32_e32 v9, v5, v12
	v_dual_fmac_f32 v13, v8, v2 :: v_dual_mul_f32 v2, v11, v53
	s_delay_alu instid0(VALU_DEP_4) | instskip(SKIP_1) | instid1(VALU_DEP_4)
	v_fmac_f32_e32 v14, v10, v53
	v_add_f32_e32 v8, v4, v55
	v_add_f32_e32 v9, v9, v7
	s_barrier_signal -1
	v_fma_f32 v15, v10, v54, -v2
	v_add_f32_e32 v2, v12, v7
	v_add_f32_e32 v6, v55, v56
	;; [unrolled: 1-line block ×3, first 2 shown]
	s_barrier_wait -1
	global_inv scope:SCOPE_SE
	v_fmac_f32_e32 v5, -0.5, v2
	v_fma_f32 v4, -0.5, v6, v4
	v_sub_f32_e32 v2, v55, v56
	v_sub_f32_e32 v6, v12, v7
	v_add_f32_e32 v7, v0, v13
	s_delay_alu instid0(VALU_DEP_3) | instskip(NEXT) | instid1(VALU_DEP_3)
	v_fmamk_f32 v11, v2, 0x3f5db3d7, v5
	v_dual_fmamk_f32 v10, v6, 0xbf5db3d7, v4 :: v_dual_fmac_f32 v5, 0xbf5db3d7, v2
	v_fmac_f32_e32 v4, 0x3f5db3d7, v6
	v_add_f32_e32 v2, v3, v15
	v_sub_f32_e32 v12, v3, v15
	v_add_f32_e32 v3, v1, v3
	v_add_f32_e32 v6, v13, v14
	v_sub_f32_e32 v13, v13, v14
	v_fmac_f32_e32 v1, -0.5, v2
	v_add_f32_e32 v2, v7, v14
	s_delay_alu instid0(VALU_DEP_4)
	v_dual_add_f32 v3, v3, v15 :: v_dual_fmac_f32 v0, -0.5, v6
	ds_store_2addr_b64 v71, v[8:9], v[10:11] offset1:15
	ds_store_b64 v71, v[4:5] offset:240
	v_fmamk_f32 v7, v13, 0x3f5db3d7, v1
	v_dual_fmac_f32 v1, 0xbf5db3d7, v13 :: v_dual_fmamk_f32 v6, v12, 0xbf5db3d7, v0
	v_fmac_f32_e32 v0, 0x3f5db3d7, v12
	s_and_saveexec_b32 s0, vcc_lo
	s_cbranch_execz .LBB0_29
; %bb.28:
	v_and_b32_e32 v4, 0xffff, v72
	s_delay_alu instid0(VALU_DEP_1)
	v_lshlrev_b32_e32 v4, 3, v4
	ds_store_2addr_b64 v4, v[2:3], v[6:7] offset1:15
	ds_store_b64 v4, v[0:1] offset:240
.LBB0_29:
	s_wait_alu 0xfffe
	s_or_b32 exec_lo, exec_lo, s0
	global_wb scope:SCOPE_SE
	s_wait_dscnt 0x0
	s_barrier_signal -1
	s_barrier_wait -1
	global_inv scope:SCOPE_SE
	ds_load_b64 v[4:5], v66
	ds_load_b64 v[10:11], v66 offset:3240
	ds_load_b64 v[8:9], v66 offset:6480
	s_and_saveexec_b32 s0, vcc_lo
	s_cbranch_execz .LBB0_31
; %bb.30:
	ds_load_b64 v[2:3], v66 offset:1944
	ds_load_b64 v[6:7], v66 offset:5184
	;; [unrolled: 1-line block ×3, first 2 shown]
.LBB0_31:
	s_wait_alu 0xfffe
	s_or_b32 exec_lo, exec_lo, s0
	s_wait_dscnt 0x0
	v_dual_mul_f32 v12, v21, v11 :: v_dual_mul_f32 v15, v23, v8
	v_dual_mul_f32 v13, v21, v10 :: v_dual_mul_f32 v14, v23, v9
	global_wb scope:SCOPE_SE
	v_fmac_f32_e32 v12, v20, v10
	v_fma_f32 v9, v22, v9, -v15
	v_fma_f32 v10, v20, v11, -v13
	v_dual_mul_f32 v13, v17, v7 :: v_dual_fmac_f32 v14, v22, v8
	v_dual_mul_f32 v15, v19, v1 :: v_dual_mul_f32 v8, v17, v6
	s_delay_alu instid0(VALU_DEP_3) | instskip(NEXT) | instid1(VALU_DEP_3)
	v_add_f32_e32 v11, v10, v9
	v_dual_fmac_f32 v13, v16, v6 :: v_dual_mul_f32 v6, v19, v0
	s_delay_alu instid0(VALU_DEP_3) | instskip(NEXT) | instid1(VALU_DEP_4)
	v_fmac_f32_e32 v15, v18, v0
	v_fma_f32 v8, v16, v7, -v8
	v_add_f32_e32 v7, v12, v14
	v_add_f32_e32 v0, v4, v12
	v_fma_f32 v1, v18, v1, -v6
	s_barrier_signal -1
	v_add_f32_e32 v16, v3, v8
	v_fma_f32 v4, -0.5, v7, v4
	v_dual_sub_f32 v7, v10, v9 :: v_dual_add_f32 v6, v0, v14
	v_dual_add_f32 v0, v5, v10 :: v_dual_fmac_f32 v5, -0.5, v11
	s_barrier_wait -1
	s_delay_alu instid0(VALU_DEP_2) | instskip(NEXT) | instid1(VALU_DEP_2)
	v_fmamk_f32 v10, v7, 0xbf5db3d7, v4
	v_dual_fmac_f32 v4, 0x3f5db3d7, v7 :: v_dual_add_f32 v7, v0, v9
	v_dual_add_f32 v0, v13, v15 :: v_dual_add_f32 v9, v8, v1
	v_sub_f32_e32 v12, v12, v14
	v_sub_f32_e32 v14, v8, v1
	global_inv scope:SCOPE_SE
	v_fmac_f32_e32 v3, -0.5, v9
	v_fmamk_f32 v11, v12, 0x3f5db3d7, v5
	v_dual_fmac_f32 v5, 0xbf5db3d7, v12 :: v_dual_add_f32 v12, v2, v13
	v_dual_fmac_f32 v2, -0.5, v0 :: v_dual_sub_f32 v13, v13, v15
	ds_store_2addr_b64 v74, v[6:7], v[10:11] offset1:45
	ds_store_b64 v74, v[4:5] offset:720
	v_dual_add_f32 v0, v12, v15 :: v_dual_fmamk_f32 v9, v13, 0x3f5db3d7, v3
	v_dual_fmac_f32 v3, 0xbf5db3d7, v13 :: v_dual_fmamk_f32 v8, v14, 0xbf5db3d7, v2
	v_dual_add_f32 v1, v16, v1 :: v_dual_fmac_f32 v2, 0x3f5db3d7, v14
	s_and_saveexec_b32 s0, vcc_lo
	s_cbranch_execz .LBB0_33
; %bb.32:
	v_and_b32_e32 v4, 0xffff, v73
	s_delay_alu instid0(VALU_DEP_1)
	v_lshlrev_b32_e32 v4, 3, v4
	ds_store_2addr_b64 v4, v[0:1], v[8:9] offset1:45
	ds_store_b64 v4, v[2:3] offset:720
.LBB0_33:
	s_wait_alu 0xfffe
	s_or_b32 exec_lo, exec_lo, s0
	global_wb scope:SCOPE_SE
	s_wait_dscnt 0x0
	s_barrier_signal -1
	s_barrier_wait -1
	global_inv scope:SCOPE_SE
	ds_load_b64 v[6:7], v66
	ds_load_b64 v[10:11], v66 offset:3240
	ds_load_b64 v[4:5], v66 offset:6480
	s_and_saveexec_b32 s0, vcc_lo
	s_cbranch_execz .LBB0_35
; %bb.34:
	ds_load_b64 v[0:1], v66 offset:1944
	ds_load_b64 v[8:9], v66 offset:5184
	;; [unrolled: 1-line block ×3, first 2 shown]
.LBB0_35:
	s_wait_alu 0xfffe
	s_or_b32 exec_lo, exec_lo, s0
	s_wait_dscnt 0x0
	v_dual_mul_f32 v12, v29, v11 :: v_dual_mul_f32 v15, v31, v4
	v_dual_mul_f32 v13, v29, v10 :: v_dual_mul_f32 v14, v31, v5
	global_wb scope:SCOPE_SE
	v_fmac_f32_e32 v12, v28, v10
	v_fma_f32 v5, v30, v5, -v15
	v_fma_f32 v10, v28, v11, -v13
	v_dual_mul_f32 v13, v25, v9 :: v_dual_fmac_f32 v14, v30, v4
	v_dual_mul_f32 v15, v27, v3 :: v_dual_mul_f32 v4, v25, v8
	s_delay_alu instid0(VALU_DEP_3) | instskip(NEXT) | instid1(VALU_DEP_3)
	v_add_f32_e32 v11, v10, v5
	v_dual_fmac_f32 v13, v24, v8 :: v_dual_mul_f32 v8, v27, v2
	s_delay_alu instid0(VALU_DEP_3) | instskip(NEXT) | instid1(VALU_DEP_4)
	v_fmac_f32_e32 v15, v26, v2
	v_fma_f32 v4, v24, v9, -v4
	v_dual_add_f32 v9, v12, v14 :: v_dual_add_f32 v2, v6, v12
	s_delay_alu instid0(VALU_DEP_4) | instskip(SKIP_2) | instid1(VALU_DEP_3)
	v_fma_f32 v3, v26, v3, -v8
	v_sub_f32_e32 v12, v12, v14
	s_barrier_signal -1
	v_fma_f32 v6, -0.5, v9, v6
	v_sub_f32_e32 v9, v10, v5
	v_add_f32_e32 v8, v2, v14
	v_dual_add_f32 v2, v7, v10 :: v_dual_fmac_f32 v7, -0.5, v11
	s_barrier_wait -1
	s_delay_alu instid0(VALU_DEP_3) | instskip(SKIP_1) | instid1(VALU_DEP_3)
	v_fmamk_f32 v10, v9, 0xbf5db3d7, v6
	v_fmac_f32_e32 v6, 0x3f5db3d7, v9
	v_dual_add_f32 v9, v2, v5 :: v_dual_add_f32 v2, v13, v15
	v_add_f32_e32 v5, v4, v3
	v_fmamk_f32 v11, v12, 0x3f5db3d7, v7
	v_dual_fmac_f32 v7, 0xbf5db3d7, v12 :: v_dual_add_f32 v12, v0, v13
	s_delay_alu instid0(VALU_DEP_4) | instskip(NEXT) | instid1(VALU_DEP_4)
	v_dual_fmac_f32 v0, -0.5, v2 :: v_dual_sub_f32 v13, v13, v15
	v_dual_add_f32 v16, v1, v4 :: v_dual_fmac_f32 v1, -0.5, v5
	v_sub_f32_e32 v14, v4, v3
	s_delay_alu instid0(VALU_DEP_4)
	v_add_f32_e32 v2, v12, v15
	global_inv scope:SCOPE_SE
	ds_store_2addr_b64 v75, v[8:9], v[10:11] offset1:135
	ds_store_b64 v75, v[6:7] offset:2160
	v_fmamk_f32 v5, v13, 0x3f5db3d7, v1
	v_dual_fmamk_f32 v4, v14, 0xbf5db3d7, v0 :: v_dual_fmac_f32 v1, 0xbf5db3d7, v13
	v_dual_fmac_f32 v0, 0x3f5db3d7, v14 :: v_dual_add_f32 v3, v16, v3
	s_and_saveexec_b32 s0, vcc_lo
	s_cbranch_execz .LBB0_37
; %bb.36:
	v_and_b32_e32 v6, 0xffff, v76
	s_delay_alu instid0(VALU_DEP_1)
	v_lshlrev_b32_e32 v6, 3, v6
	ds_store_2addr_b64 v6, v[2:3], v[4:5] offset1:135
	ds_store_b64 v6, v[0:1] offset:2160
.LBB0_37:
	s_wait_alu 0xfffe
	s_or_b32 exec_lo, exec_lo, s0
	global_wb scope:SCOPE_SE
	s_wait_dscnt 0x0
	s_barrier_signal -1
	s_barrier_wait -1
	global_inv scope:SCOPE_SE
	ds_load_b64 v[6:7], v66
	ds_load_b64 v[8:9], v66 offset:3240
	ds_load_b64 v[10:11], v66 offset:6480
	s_and_saveexec_b32 s0, vcc_lo
	s_cbranch_execz .LBB0_39
; %bb.38:
	ds_load_b64 v[2:3], v66 offset:1944
	ds_load_b64 v[4:5], v66 offset:5184
	;; [unrolled: 1-line block ×3, first 2 shown]
.LBB0_39:
	s_wait_alu 0xfffe
	s_or_b32 exec_lo, exec_lo, s0
	s_wait_dscnt 0x0
	v_dual_mul_f32 v12, v37, v9 :: v_dual_mul_f32 v13, v39, v11
	v_dual_mul_f32 v14, v37, v8 :: v_dual_mul_f32 v15, v39, v10
	s_delay_alu instid0(VALU_DEP_2) | instskip(NEXT) | instid1(VALU_DEP_2)
	v_dual_fmac_f32 v12, v36, v8 :: v_dual_fmac_f32 v13, v38, v10
	v_fma_f32 v8, v36, v9, -v14
	s_delay_alu instid0(VALU_DEP_3) | instskip(NEXT) | instid1(VALU_DEP_3)
	v_fma_f32 v9, v38, v11, -v15
	v_dual_add_f32 v11, v6, v12 :: v_dual_add_f32 v10, v12, v13
	v_sub_f32_e32 v12, v12, v13
	s_delay_alu instid0(VALU_DEP_3) | instskip(SKIP_1) | instid1(VALU_DEP_4)
	v_add_f32_e32 v14, v8, v9
	v_dual_sub_f32 v15, v8, v9 :: v_dual_add_f32 v16, v7, v8
	v_fma_f32 v6, -0.5, v10, v6
	s_delay_alu instid0(VALU_DEP_3) | instskip(NEXT) | instid1(VALU_DEP_2)
	v_dual_fmac_f32 v7, -0.5, v14 :: v_dual_add_f32 v8, v11, v13
	v_dual_add_f32 v9, v16, v9 :: v_dual_fmamk_f32 v10, v15, 0xbf5db3d7, v6
	s_delay_alu instid0(VALU_DEP_2)
	v_dual_fmac_f32 v6, 0x3f5db3d7, v15 :: v_dual_fmamk_f32 v11, v12, 0x3f5db3d7, v7
	v_fmac_f32_e32 v7, 0xbf5db3d7, v12
	ds_store_b64 v66, v[8:9]
	ds_store_b64 v66, v[10:11] offset:3240
	ds_store_b64 v66, v[6:7] offset:6480
	s_and_saveexec_b32 s0, vcc_lo
	s_cbranch_execz .LBB0_41
; %bb.40:
	v_dual_mul_f32 v6, v33, v4 :: v_dual_mul_f32 v9, v35, v1
	v_dual_mul_f32 v7, v35, v0 :: v_dual_mul_f32 v8, v33, v5
	s_delay_alu instid0(VALU_DEP_2) | instskip(NEXT) | instid1(VALU_DEP_2)
	v_fma_f32 v5, v32, v5, -v6
	v_fma_f32 v6, v34, v1, -v7
	s_delay_alu instid0(VALU_DEP_3) | instskip(NEXT) | instid1(VALU_DEP_2)
	v_fmac_f32_e32 v8, v32, v4
	v_dual_fmac_f32 v9, v34, v0 :: v_dual_add_f32 v0, v5, v6
	v_sub_f32_e32 v11, v5, v6
	s_delay_alu instid0(VALU_DEP_2) | instskip(NEXT) | instid1(VALU_DEP_3)
	v_add_f32_e32 v7, v8, v9
	v_fma_f32 v1, -0.5, v0, v3
	v_add_f32_e32 v10, v3, v5
	v_sub_f32_e32 v4, v8, v9
	v_add_f32_e32 v8, v2, v8
	v_fma_f32 v0, -0.5, v7, v2
	s_delay_alu instid0(VALU_DEP_4) | instskip(NEXT) | instid1(VALU_DEP_4)
	v_add_f32_e32 v3, v10, v6
	v_fmamk_f32 v5, v4, 0xbf5db3d7, v1
	s_delay_alu instid0(VALU_DEP_4) | instskip(NEXT) | instid1(VALU_DEP_4)
	v_dual_add_f32 v2, v8, v9 :: v_dual_fmac_f32 v1, 0x3f5db3d7, v4
	v_fmamk_f32 v4, v11, 0x3f5db3d7, v0
	v_fmac_f32_e32 v0, 0xbf5db3d7, v11
	ds_store_b64 v66, v[2:3] offset:1944
	ds_store_b64 v66, v[0:1] offset:5184
	ds_store_b64 v66, v[4:5] offset:8424
.LBB0_41:
	s_wait_alu 0xfffe
	s_or_b32 exec_lo, exec_lo, s0
	global_wb scope:SCOPE_SE
	s_wait_dscnt 0x0
	s_barrier_signal -1
	s_barrier_wait -1
	global_inv scope:SCOPE_SE
	ds_load_2addr_b64 v[0:3], v66 offset1:243
	ds_load_b64 v[8:9], v66 offset:7776
	v_add_nc_u32_e32 v4, 0xf00, v66
	v_mad_co_u64_u32 v[20:21], null, s6, v40, 0
	v_mad_co_u64_u32 v[22:23], null, s4, v65, 0
	s_mov_b32 s0, 0x40e53dbc
	s_mov_b32 s1, 0x3f4af834
	s_delay_alu instid0(VALU_DEP_1)
	v_mad_co_u64_u32 v[24:25], null, s7, v40, v[21:22]
	s_wait_dscnt 0x1
	v_mul_f32_e32 v11, v42, v0
	ds_load_2addr_b64 v[4:7], v4 offset0:6 offset1:249
	s_wait_dscnt 0x1
	v_dual_mul_f32 v12, v44, v3 :: v_dual_mul_f32 v15, v50, v8
	v_mad_co_u64_u32 v[25:26], null, s5, v65, v[23:24]
	v_dual_mul_f32 v10, v42, v1 :: v_dual_mul_f32 v13, v44, v2
	v_mul_f32_e32 v14, v50, v9
	s_delay_alu instid0(VALU_DEP_4) | instskip(SKIP_1) | instid1(VALU_DEP_4)
	v_fmac_f32_e32 v12, v43, v2
	v_fma_f32 v11, v41, v1, -v11
	v_dual_fmac_f32 v10, v41, v0 :: v_dual_mov_b32 v21, v24
	v_fma_f32 v13, v43, v3, -v13
	v_fma_f32 v15, v49, v9, -v15
	s_delay_alu instid0(VALU_DEP_4)
	v_cvt_f64_f32_e32 v[2:3], v11
	v_mov_b32_e32 v23, v25
	v_cvt_f64_f32_e32 v[0:1], v10
	v_cvt_f64_f32_e32 v[10:11], v13
	s_wait_dscnt 0x0
	v_mul_f32_e32 v16, v46, v5
	v_dual_mul_f32 v17, v46, v4 :: v_dual_mul_f32 v18, v48, v7
	v_dual_mul_f32 v19, v48, v6 :: v_dual_fmac_f32 v14, v49, v8
	s_delay_alu instid0(VALU_DEP_3) | instskip(NEXT) | instid1(VALU_DEP_3)
	v_fmac_f32_e32 v16, v45, v4
	v_fma_f32 v17, v45, v5, -v17
	s_delay_alu instid0(VALU_DEP_4) | instskip(NEXT) | instid1(VALU_DEP_4)
	v_fmac_f32_e32 v18, v47, v6
	v_fma_f32 v19, v47, v7, -v19
	v_cvt_f64_f32_e32 v[8:9], v12
	v_cvt_f64_f32_e32 v[4:5], v14
	;; [unrolled: 1-line block ×7, first 2 shown]
	s_wait_alu 0xfffe
	v_mul_f64_e32 v[2:3], s[0:1], v[2:3]
	v_mul_f64_e32 v[0:1], s[0:1], v[0:1]
	;; [unrolled: 1-line block ×10, first 2 shown]
	s_mul_u64 s[0:1], s[4:5], 0x798
	v_cvt_f32_f64_e32 v0, v[0:1]
	v_cvt_f32_f64_e32 v1, v[2:3]
	;; [unrolled: 1-line block ×3, first 2 shown]
	v_lshlrev_b64_e32 v[10:11], 3, v[20:21]
	s_delay_alu instid0(VALU_DEP_1) | instskip(SKIP_1) | instid1(VALU_DEP_2)
	v_add_co_u32 v10, vcc_lo, s2, v10
	s_wait_alu 0xfffd
	v_add_co_ci_u32_e32 v11, vcc_lo, s3, v11, vcc_lo
	v_cvt_f32_f64_e32 v2, v[8:9]
	v_cvt_f32_f64_e32 v4, v[4:5]
	;; [unrolled: 1-line block ×7, first 2 shown]
	v_lshlrev_b64_e32 v[12:13], 3, v[22:23]
	s_delay_alu instid0(VALU_DEP_1) | instskip(SKIP_1) | instid1(VALU_DEP_2)
	v_add_co_u32 v10, vcc_lo, v10, v12
	s_wait_alu 0xfffd
	v_add_co_ci_u32_e32 v11, vcc_lo, v11, v13, vcc_lo
	s_wait_alu 0xfffe
	s_delay_alu instid0(VALU_DEP_2) | instskip(SKIP_1) | instid1(VALU_DEP_2)
	v_add_co_u32 v12, vcc_lo, v10, s0
	s_wait_alu 0xfffd
	v_add_co_ci_u32_e32 v13, vcc_lo, s1, v11, vcc_lo
	s_delay_alu instid0(VALU_DEP_2) | instskip(SKIP_1) | instid1(VALU_DEP_2)
	v_add_co_u32 v14, vcc_lo, v12, s0
	s_wait_alu 0xfffd
	v_add_co_ci_u32_e32 v15, vcc_lo, s1, v13, vcc_lo
	s_delay_alu instid0(VALU_DEP_2) | instskip(SKIP_1) | instid1(VALU_DEP_2)
	v_add_co_u32 v16, vcc_lo, v14, s0
	s_wait_alu 0xfffd
	v_add_co_ci_u32_e32 v17, vcc_lo, s1, v15, vcc_lo
	s_delay_alu instid0(VALU_DEP_2) | instskip(SKIP_1) | instid1(VALU_DEP_2)
	v_add_co_u32 v18, vcc_lo, v16, s0
	s_wait_alu 0xfffd
	v_add_co_ci_u32_e32 v19, vcc_lo, s1, v17, vcc_lo
	s_clause 0x4
	global_store_b64 v[10:11], v[0:1], off
	global_store_b64 v[12:13], v[2:3], off
	;; [unrolled: 1-line block ×5, first 2 shown]
.LBB0_42:
	s_nop 0
	s_sendmsg sendmsg(MSG_DEALLOC_VGPRS)
	s_endpgm
	.section	.rodata,"a",@progbits
	.p2align	6, 0x0
	.amdhsa_kernel bluestein_single_back_len1215_dim1_sp_op_CI_CI
		.amdhsa_group_segment_fixed_size 9720
		.amdhsa_private_segment_fixed_size 0
		.amdhsa_kernarg_size 104
		.amdhsa_user_sgpr_count 2
		.amdhsa_user_sgpr_dispatch_ptr 0
		.amdhsa_user_sgpr_queue_ptr 0
		.amdhsa_user_sgpr_kernarg_segment_ptr 1
		.amdhsa_user_sgpr_dispatch_id 0
		.amdhsa_user_sgpr_private_segment_size 0
		.amdhsa_wavefront_size32 1
		.amdhsa_uses_dynamic_stack 0
		.amdhsa_enable_private_segment 0
		.amdhsa_system_sgpr_workgroup_id_x 1
		.amdhsa_system_sgpr_workgroup_id_y 0
		.amdhsa_system_sgpr_workgroup_id_z 0
		.amdhsa_system_sgpr_workgroup_info 0
		.amdhsa_system_vgpr_workitem_id 0
		.amdhsa_next_free_vgpr 91
		.amdhsa_next_free_sgpr 20
		.amdhsa_reserve_vcc 1
		.amdhsa_float_round_mode_32 0
		.amdhsa_float_round_mode_16_64 0
		.amdhsa_float_denorm_mode_32 3
		.amdhsa_float_denorm_mode_16_64 3
		.amdhsa_fp16_overflow 0
		.amdhsa_workgroup_processor_mode 1
		.amdhsa_memory_ordered 1
		.amdhsa_forward_progress 0
		.amdhsa_round_robin_scheduling 0
		.amdhsa_exception_fp_ieee_invalid_op 0
		.amdhsa_exception_fp_denorm_src 0
		.amdhsa_exception_fp_ieee_div_zero 0
		.amdhsa_exception_fp_ieee_overflow 0
		.amdhsa_exception_fp_ieee_underflow 0
		.amdhsa_exception_fp_ieee_inexact 0
		.amdhsa_exception_int_div_zero 0
	.end_amdhsa_kernel
	.text
.Lfunc_end0:
	.size	bluestein_single_back_len1215_dim1_sp_op_CI_CI, .Lfunc_end0-bluestein_single_back_len1215_dim1_sp_op_CI_CI
                                        ; -- End function
	.section	.AMDGPU.csdata,"",@progbits
; Kernel info:
; codeLenInByte = 7844
; NumSgprs: 22
; NumVgprs: 91
; ScratchSize: 0
; MemoryBound: 0
; FloatMode: 240
; IeeeMode: 1
; LDSByteSize: 9720 bytes/workgroup (compile time only)
; SGPRBlocks: 2
; VGPRBlocks: 11
; NumSGPRsForWavesPerEU: 22
; NumVGPRsForWavesPerEU: 91
; Occupancy: 16
; WaveLimiterHint : 1
; COMPUTE_PGM_RSRC2:SCRATCH_EN: 0
; COMPUTE_PGM_RSRC2:USER_SGPR: 2
; COMPUTE_PGM_RSRC2:TRAP_HANDLER: 0
; COMPUTE_PGM_RSRC2:TGID_X_EN: 1
; COMPUTE_PGM_RSRC2:TGID_Y_EN: 0
; COMPUTE_PGM_RSRC2:TGID_Z_EN: 0
; COMPUTE_PGM_RSRC2:TIDIG_COMP_CNT: 0
	.text
	.p2alignl 7, 3214868480
	.fill 96, 4, 3214868480
	.type	__hip_cuid_354d7b81da046fc3,@object ; @__hip_cuid_354d7b81da046fc3
	.section	.bss,"aw",@nobits
	.globl	__hip_cuid_354d7b81da046fc3
__hip_cuid_354d7b81da046fc3:
	.byte	0                               ; 0x0
	.size	__hip_cuid_354d7b81da046fc3, 1

	.ident	"AMD clang version 19.0.0git (https://github.com/RadeonOpenCompute/llvm-project roc-6.4.0 25133 c7fe45cf4b819c5991fe208aaa96edf142730f1d)"
	.section	".note.GNU-stack","",@progbits
	.addrsig
	.addrsig_sym __hip_cuid_354d7b81da046fc3
	.amdgpu_metadata
---
amdhsa.kernels:
  - .args:
      - .actual_access:  read_only
        .address_space:  global
        .offset:         0
        .size:           8
        .value_kind:     global_buffer
      - .actual_access:  read_only
        .address_space:  global
        .offset:         8
        .size:           8
        .value_kind:     global_buffer
      - .actual_access:  read_only
        .address_space:  global
        .offset:         16
        .size:           8
        .value_kind:     global_buffer
      - .actual_access:  read_only
        .address_space:  global
        .offset:         24
        .size:           8
        .value_kind:     global_buffer
      - .actual_access:  read_only
        .address_space:  global
        .offset:         32
        .size:           8
        .value_kind:     global_buffer
      - .offset:         40
        .size:           8
        .value_kind:     by_value
      - .address_space:  global
        .offset:         48
        .size:           8
        .value_kind:     global_buffer
      - .address_space:  global
        .offset:         56
        .size:           8
        .value_kind:     global_buffer
      - .address_space:  global
        .offset:         64
        .size:           8
        .value_kind:     global_buffer
      - .address_space:  global
        .offset:         72
        .size:           8
        .value_kind:     global_buffer
      - .offset:         80
        .size:           4
        .value_kind:     by_value
      - .address_space:  global
        .offset:         88
        .size:           8
        .value_kind:     global_buffer
      - .address_space:  global
        .offset:         96
        .size:           8
        .value_kind:     global_buffer
    .group_segment_fixed_size: 9720
    .kernarg_segment_align: 8
    .kernarg_segment_size: 104
    .language:       OpenCL C
    .language_version:
      - 2
      - 0
    .max_flat_workgroup_size: 243
    .name:           bluestein_single_back_len1215_dim1_sp_op_CI_CI
    .private_segment_fixed_size: 0
    .sgpr_count:     22
    .sgpr_spill_count: 0
    .symbol:         bluestein_single_back_len1215_dim1_sp_op_CI_CI.kd
    .uniform_work_group_size: 1
    .uses_dynamic_stack: false
    .vgpr_count:     91
    .vgpr_spill_count: 0
    .wavefront_size: 32
    .workgroup_processor_mode: 1
amdhsa.target:   amdgcn-amd-amdhsa--gfx1201
amdhsa.version:
  - 1
  - 2
...

	.end_amdgpu_metadata
